;; amdgpu-corpus repo=ROCm/rocFFT kind=compiled arch=gfx906 opt=O3
	.text
	.amdgcn_target "amdgcn-amd-amdhsa--gfx906"
	.amdhsa_code_object_version 6
	.protected	fft_rtc_back_len400_factors_4_10_10_wgs_120_tpt_40_halfLds_dp_op_CI_CI_unitstride_sbrr_R2C_dirReg ; -- Begin function fft_rtc_back_len400_factors_4_10_10_wgs_120_tpt_40_halfLds_dp_op_CI_CI_unitstride_sbrr_R2C_dirReg
	.globl	fft_rtc_back_len400_factors_4_10_10_wgs_120_tpt_40_halfLds_dp_op_CI_CI_unitstride_sbrr_R2C_dirReg
	.p2align	8
	.type	fft_rtc_back_len400_factors_4_10_10_wgs_120_tpt_40_halfLds_dp_op_CI_CI_unitstride_sbrr_R2C_dirReg,@function
fft_rtc_back_len400_factors_4_10_10_wgs_120_tpt_40_halfLds_dp_op_CI_CI_unitstride_sbrr_R2C_dirReg: ; @fft_rtc_back_len400_factors_4_10_10_wgs_120_tpt_40_halfLds_dp_op_CI_CI_unitstride_sbrr_R2C_dirReg
; %bb.0:
	s_load_dwordx4 s[8:11], s[4:5], 0x58
	s_load_dwordx4 s[12:15], s[4:5], 0x0
	;; [unrolled: 1-line block ×3, first 2 shown]
	v_mul_u32_u24_e32 v1, 0x667, v0
	v_lshrrev_b32_e32 v1, 16, v1
	v_mad_u64_u32 v[3:4], s[0:1], s6, 3, v[1:2]
	v_mov_b32_e32 v5, 0
	v_mov_b32_e32 v1, 0
	;; [unrolled: 1-line block ×3, first 2 shown]
	s_waitcnt lgkmcnt(0)
	v_cmp_lt_u64_e64 s[0:1], s[14:15], 2
	v_mov_b32_e32 v2, 0
	v_mov_b32_e32 v17, v2
	;; [unrolled: 1-line block ×3, first 2 shown]
	s_and_b64 vcc, exec, s[0:1]
	v_mov_b32_e32 v16, v1
	v_mov_b32_e32 v18, v3
	s_cbranch_vccnz .LBB0_8
; %bb.1:
	s_load_dwordx2 s[0:1], s[4:5], 0x10
	s_add_u32 s2, s18, 8
	s_addc_u32 s3, s19, 0
	s_add_u32 s6, s16, 8
	v_mov_b32_e32 v1, 0
	s_addc_u32 s7, s17, 0
	v_mov_b32_e32 v2, 0
	s_waitcnt lgkmcnt(0)
	s_add_u32 s20, s0, 8
	v_mov_b32_e32 v17, v2
	v_mov_b32_e32 v8, v4
	s_addc_u32 s21, s1, 0
	s_mov_b64 s[22:23], 1
	v_mov_b32_e32 v16, v1
	v_mov_b32_e32 v7, v3
.LBB0_2:                                ; =>This Inner Loop Header: Depth=1
	s_load_dwordx2 s[24:25], s[20:21], 0x0
                                        ; implicit-def: $vgpr18_vgpr19
	s_waitcnt lgkmcnt(0)
	v_or_b32_e32 v6, s25, v8
	v_cmp_ne_u64_e32 vcc, 0, v[5:6]
	s_and_saveexec_b64 s[0:1], vcc
	s_xor_b64 s[26:27], exec, s[0:1]
	s_cbranch_execz .LBB0_4
; %bb.3:                                ;   in Loop: Header=BB0_2 Depth=1
	v_cvt_f32_u32_e32 v4, s24
	v_cvt_f32_u32_e32 v6, s25
	s_sub_u32 s0, 0, s24
	s_subb_u32 s1, 0, s25
	v_mac_f32_e32 v4, 0x4f800000, v6
	v_rcp_f32_e32 v4, v4
	v_mul_f32_e32 v4, 0x5f7ffffc, v4
	v_mul_f32_e32 v6, 0x2f800000, v4
	v_trunc_f32_e32 v6, v6
	v_mac_f32_e32 v4, 0xcf800000, v6
	v_cvt_u32_f32_e32 v6, v6
	v_cvt_u32_f32_e32 v4, v4
	v_mul_lo_u32 v9, s0, v6
	v_mul_hi_u32 v10, s0, v4
	v_mul_lo_u32 v12, s1, v4
	v_mul_lo_u32 v11, s0, v4
	v_add_u32_e32 v9, v10, v9
	v_add_u32_e32 v9, v9, v12
	v_mul_hi_u32 v10, v4, v11
	v_mul_lo_u32 v12, v4, v9
	v_mul_hi_u32 v14, v4, v9
	v_mul_hi_u32 v13, v6, v11
	v_mul_lo_u32 v11, v6, v11
	v_mul_hi_u32 v15, v6, v9
	v_add_co_u32_e32 v10, vcc, v10, v12
	v_addc_co_u32_e32 v12, vcc, 0, v14, vcc
	v_mul_lo_u32 v9, v6, v9
	v_add_co_u32_e32 v10, vcc, v10, v11
	v_addc_co_u32_e32 v10, vcc, v12, v13, vcc
	v_addc_co_u32_e32 v11, vcc, 0, v15, vcc
	v_add_co_u32_e32 v9, vcc, v10, v9
	v_addc_co_u32_e32 v10, vcc, 0, v11, vcc
	v_add_co_u32_e32 v4, vcc, v4, v9
	v_addc_co_u32_e32 v6, vcc, v6, v10, vcc
	v_mul_lo_u32 v9, s0, v6
	v_mul_hi_u32 v10, s0, v4
	v_mul_lo_u32 v11, s1, v4
	v_mul_lo_u32 v12, s0, v4
	v_add_u32_e32 v9, v10, v9
	v_add_u32_e32 v9, v9, v11
	v_mul_lo_u32 v13, v4, v9
	v_mul_hi_u32 v14, v4, v12
	v_mul_hi_u32 v15, v4, v9
	;; [unrolled: 1-line block ×3, first 2 shown]
	v_mul_lo_u32 v12, v6, v12
	v_mul_hi_u32 v10, v6, v9
	v_add_co_u32_e32 v13, vcc, v14, v13
	v_addc_co_u32_e32 v14, vcc, 0, v15, vcc
	v_mul_lo_u32 v9, v6, v9
	v_add_co_u32_e32 v12, vcc, v13, v12
	v_addc_co_u32_e32 v11, vcc, v14, v11, vcc
	v_addc_co_u32_e32 v10, vcc, 0, v10, vcc
	v_add_co_u32_e32 v9, vcc, v11, v9
	v_addc_co_u32_e32 v10, vcc, 0, v10, vcc
	v_add_co_u32_e32 v4, vcc, v4, v9
	v_addc_co_u32_e32 v6, vcc, v6, v10, vcc
	v_mad_u64_u32 v[9:10], s[0:1], v7, v6, 0
	v_mul_hi_u32 v11, v7, v4
	v_add_co_u32_e32 v13, vcc, v11, v9
	v_addc_co_u32_e32 v14, vcc, 0, v10, vcc
	v_mad_u64_u32 v[9:10], s[0:1], v8, v4, 0
	v_mad_u64_u32 v[11:12], s[0:1], v8, v6, 0
	v_add_co_u32_e32 v4, vcc, v13, v9
	v_addc_co_u32_e32 v4, vcc, v14, v10, vcc
	v_addc_co_u32_e32 v6, vcc, 0, v12, vcc
	v_add_co_u32_e32 v4, vcc, v4, v11
	v_addc_co_u32_e32 v6, vcc, 0, v6, vcc
	v_mul_lo_u32 v11, s25, v4
	v_mul_lo_u32 v12, s24, v6
	v_mad_u64_u32 v[9:10], s[0:1], s24, v4, 0
	v_add3_u32 v10, v10, v12, v11
	v_sub_u32_e32 v11, v8, v10
	v_mov_b32_e32 v12, s25
	v_sub_co_u32_e32 v9, vcc, v7, v9
	v_subb_co_u32_e64 v11, s[0:1], v11, v12, vcc
	v_subrev_co_u32_e64 v12, s[0:1], s24, v9
	v_subbrev_co_u32_e64 v11, s[0:1], 0, v11, s[0:1]
	v_cmp_le_u32_e64 s[0:1], s25, v11
	v_cndmask_b32_e64 v13, 0, -1, s[0:1]
	v_cmp_le_u32_e64 s[0:1], s24, v12
	v_cndmask_b32_e64 v12, 0, -1, s[0:1]
	v_cmp_eq_u32_e64 s[0:1], s25, v11
	v_cndmask_b32_e64 v11, v13, v12, s[0:1]
	v_add_co_u32_e64 v12, s[0:1], 2, v4
	v_addc_co_u32_e64 v13, s[0:1], 0, v6, s[0:1]
	v_add_co_u32_e64 v14, s[0:1], 1, v4
	v_addc_co_u32_e64 v15, s[0:1], 0, v6, s[0:1]
	v_subb_co_u32_e32 v10, vcc, v8, v10, vcc
	v_cmp_ne_u32_e64 s[0:1], 0, v11
	v_cmp_le_u32_e32 vcc, s25, v10
	v_cndmask_b32_e64 v11, v15, v13, s[0:1]
	v_cndmask_b32_e64 v13, 0, -1, vcc
	v_cmp_le_u32_e32 vcc, s24, v9
	v_cndmask_b32_e64 v9, 0, -1, vcc
	v_cmp_eq_u32_e32 vcc, s25, v10
	v_cndmask_b32_e32 v9, v13, v9, vcc
	v_cmp_ne_u32_e32 vcc, 0, v9
	v_cndmask_b32_e32 v19, v6, v11, vcc
	v_cndmask_b32_e64 v6, v14, v12, s[0:1]
	v_cndmask_b32_e32 v18, v4, v6, vcc
.LBB0_4:                                ;   in Loop: Header=BB0_2 Depth=1
	s_andn2_saveexec_b64 s[0:1], s[26:27]
	s_cbranch_execz .LBB0_6
; %bb.5:                                ;   in Loop: Header=BB0_2 Depth=1
	v_cvt_f32_u32_e32 v4, s24
	s_sub_i32 s26, 0, s24
	v_mov_b32_e32 v19, v5
	v_rcp_iflag_f32_e32 v4, v4
	v_mul_f32_e32 v4, 0x4f7ffffe, v4
	v_cvt_u32_f32_e32 v4, v4
	v_mul_lo_u32 v6, s26, v4
	v_mul_hi_u32 v6, v4, v6
	v_add_u32_e32 v4, v4, v6
	v_mul_hi_u32 v4, v7, v4
	v_mul_lo_u32 v6, v4, s24
	v_add_u32_e32 v9, 1, v4
	v_sub_u32_e32 v6, v7, v6
	v_subrev_u32_e32 v10, s24, v6
	v_cmp_le_u32_e32 vcc, s24, v6
	v_cndmask_b32_e32 v6, v6, v10, vcc
	v_cndmask_b32_e32 v4, v4, v9, vcc
	v_add_u32_e32 v9, 1, v4
	v_cmp_le_u32_e32 vcc, s24, v6
	v_cndmask_b32_e32 v18, v4, v9, vcc
.LBB0_6:                                ;   in Loop: Header=BB0_2 Depth=1
	s_or_b64 exec, exec, s[0:1]
	v_mul_lo_u32 v4, v19, s24
	v_mul_lo_u32 v6, v18, s25
	v_mad_u64_u32 v[9:10], s[0:1], v18, s24, 0
	s_load_dwordx2 s[0:1], s[6:7], 0x0
	s_load_dwordx2 s[24:25], s[2:3], 0x0
	v_add3_u32 v4, v10, v6, v4
	v_sub_co_u32_e32 v6, vcc, v7, v9
	v_subb_co_u32_e32 v4, vcc, v8, v4, vcc
	s_waitcnt lgkmcnt(0)
	v_mul_lo_u32 v7, s0, v4
	v_mul_lo_u32 v8, s1, v6
	v_mad_u64_u32 v[1:2], s[0:1], s0, v6, v[1:2]
	s_add_u32 s22, s22, 1
	s_addc_u32 s23, s23, 0
	s_add_u32 s2, s2, 8
	v_mul_lo_u32 v4, s24, v4
	v_mul_lo_u32 v9, s25, v6
	v_mad_u64_u32 v[16:17], s[0:1], s24, v6, v[16:17]
	v_add3_u32 v2, v8, v2, v7
	s_addc_u32 s3, s3, 0
	v_mov_b32_e32 v6, s14
	s_add_u32 s6, s6, 8
	v_mov_b32_e32 v7, s15
	s_addc_u32 s7, s7, 0
	v_cmp_ge_u64_e32 vcc, s[22:23], v[6:7]
	s_add_u32 s20, s20, 8
	v_add3_u32 v17, v9, v17, v4
	s_addc_u32 s21, s21, 0
	s_cbranch_vccnz .LBB0_8
; %bb.7:                                ;   in Loop: Header=BB0_2 Depth=1
	v_mov_b32_e32 v7, v18
	v_mov_b32_e32 v8, v19
	s_branch .LBB0_2
.LBB0_8:
	s_mov_b32 s0, 0xaaaaaaab
	s_load_dwordx2 s[4:5], s[4:5], 0x28
	v_mul_hi_u32 v4, v3, s0
	s_lshl_b64 s[6:7], s[14:15], 3
	s_add_u32 s2, s18, s6
	s_addc_u32 s3, s19, s7
	v_lshrrev_b32_e32 v4, 1, v4
	v_lshl_add_u32 v4, v4, 1, v4
	s_waitcnt lgkmcnt(0)
	v_cmp_gt_u64_e64 s[0:1], s[4:5], v[18:19]
	v_cmp_le_u64_e32 vcc, s[4:5], v[18:19]
	v_sub_u32_e32 v3, v3, v4
                                        ; implicit-def: $vgpr20
                                        ; implicit-def: $vgpr22
                                        ; implicit-def: $vgpr24
	s_and_saveexec_b64 s[4:5], vcc
	s_xor_b64 s[4:5], exec, s[4:5]
; %bb.9:
	s_mov_b32 s14, 0x6666667
	v_mul_hi_u32 v1, v0, s14
	v_mul_u32_u24_e32 v1, 40, v1
	v_sub_u32_e32 v20, v0, v1
	v_add_u32_e32 v22, 40, v20
	v_add_u32_e32 v24, 0x50, v20
                                        ; implicit-def: $vgpr0
                                        ; implicit-def: $vgpr1_vgpr2
; %bb.10:
	s_or_saveexec_b64 s[4:5], s[4:5]
	v_mul_u32_u24_e32 v3, 0x191, v3
	v_lshlrev_b32_e32 v25, 4, v3
	s_xor_b64 exec, exec, s[4:5]
	s_cbranch_execz .LBB0_12
; %bb.11:
	s_add_u32 s6, s16, s6
	s_addc_u32 s7, s17, s7
	s_load_dwordx2 s[6:7], s[6:7], 0x0
	s_mov_b32 s14, 0x6666667
	v_mul_hi_u32 v5, v0, s14
	s_waitcnt lgkmcnt(0)
	v_mul_lo_u32 v6, s7, v18
	v_mul_lo_u32 v7, s6, v19
	v_mad_u64_u32 v[3:4], s[6:7], s6, v18, 0
	v_mul_u32_u24_e32 v5, 40, v5
	v_sub_u32_e32 v20, v0, v5
	v_add3_u32 v4, v4, v7, v6
	v_lshlrev_b64 v[3:4], 4, v[3:4]
	v_mov_b32_e32 v0, s9
	v_add_co_u32_e32 v3, vcc, s8, v3
	v_addc_co_u32_e32 v4, vcc, v0, v4, vcc
	v_lshlrev_b64 v[0:1], 4, v[1:2]
	v_lshlrev_b32_e32 v52, 4, v20
	v_add_co_u32_e32 v23, vcc, v3, v0
	v_addc_co_u32_e32 v24, vcc, v4, v1, vcc
	v_add_co_u32_e32 v21, vcc, v23, v52
	v_addc_co_u32_e32 v22, vcc, 0, v24, vcc
	v_or_b32_e32 v26, 0x1400, v52
	v_add_co_u32_e32 v23, vcc, v23, v26
	s_movk_i32 s6, 0x1000
	v_addc_co_u32_e32 v24, vcc, 0, v24, vcc
	v_add_co_u32_e32 v50, vcc, s6, v21
	global_load_dwordx4 v[0:3], v[21:22], off
	global_load_dwordx4 v[4:7], v[21:22], off offset:640
	global_load_dwordx4 v[8:11], v[21:22], off offset:1280
	;; [unrolled: 1-line block ×5, first 2 shown]
	v_addc_co_u32_e32 v51, vcc, 0, v22, vcc
	global_load_dwordx4 v[34:37], v[21:22], off offset:3840
	global_load_dwordx4 v[38:41], v[23:24], off
	global_load_dwordx4 v[42:45], v[50:51], off offset:384
	global_load_dwordx4 v[46:49], v[50:51], off offset:1664
	v_add_u32_e32 v22, 40, v20
	v_add_u32_e32 v24, 0x50, v20
	v_add3_u32 v21, 0, v25, v52
	s_waitcnt vmcnt(9)
	ds_write_b128 v21, v[0:3]
	s_waitcnt vmcnt(8)
	ds_write_b128 v21, v[4:7] offset:640
	s_waitcnt vmcnt(7)
	ds_write_b128 v21, v[8:11] offset:1280
	;; [unrolled: 2-line block ×9, first 2 shown]
.LBB0_12:
	s_or_b64 exec, exec, s[4:5]
	v_lshlrev_b32_e32 v21, 4, v20
	v_add_u32_e32 v26, 0, v25
	v_add3_u32 v23, 0, v21, v25
	s_load_dwordx2 s[2:3], s[2:3], 0x0
	s_waitcnt lgkmcnt(0)
	s_barrier
	v_add_u32_e32 v27, v26, v21
	ds_read_b128 v[0:3], v23 offset:3200
	ds_read_b128 v[8:11], v27
	ds_read_b128 v[28:31], v23 offset:640
	ds_read_b128 v[32:35], v23 offset:3840
	;; [unrolled: 1-line block ×4, first 2 shown]
	s_waitcnt lgkmcnt(4)
	v_add_f64 v[48:49], v[8:9], -v[0:1]
	v_add_f64 v[50:51], v[10:11], -v[2:3]
	ds_read_b128 v[0:3], v23 offset:1280
	ds_read_b128 v[4:7], v23 offset:4480
	s_waitcnt lgkmcnt(4)
	v_add_f64 v[60:61], v[28:29], -v[32:33]
	s_waitcnt lgkmcnt(2)
	v_add_f64 v[44:45], v[36:37], -v[12:13]
	v_add_f64 v[46:47], v[38:39], -v[14:15]
	;; [unrolled: 1-line block ×3, first 2 shown]
	v_cmp_gt_u32_e32 vcc, 20, v20
	v_fma_f64 v[52:53], v[8:9], 2.0, -v[48:49]
	v_fma_f64 v[54:55], v[10:11], 2.0, -v[50:51]
	v_fma_f64 v[56:57], v[36:37], 2.0, -v[44:45]
	v_fma_f64 v[58:59], v[38:39], 2.0, -v[46:47]
	ds_read_b128 v[36:39], v23 offset:5440
	ds_read_b128 v[40:43], v23 offset:2240
	;; [unrolled: 1-line block ×4, first 2 shown]
	s_waitcnt lgkmcnt(0)
	s_barrier
	v_add_f64 v[64:65], v[40:41], -v[36:37]
	v_add_f64 v[66:67], v[42:43], -v[38:39]
	v_add_f64 v[36:37], v[48:49], v[46:47]
	v_add_f64 v[32:33], v[52:53], -v[56:57]
	v_add_f64 v[34:35], v[54:55], -v[58:59]
	v_fma_f64 v[56:57], v[28:29], 2.0, -v[60:61]
	v_fma_f64 v[58:59], v[30:31], 2.0, -v[62:63]
	v_add_f64 v[38:39], v[50:51], -v[44:45]
	v_fma_f64 v[40:41], v[40:41], 2.0, -v[64:65]
	v_fma_f64 v[42:43], v[42:43], 2.0, -v[66:67]
	v_add_f64 v[44:45], v[60:61], v[66:67]
	v_add_f64 v[46:47], v[62:63], -v[64:65]
	v_fma_f64 v[28:29], v[52:53], 2.0, -v[32:33]
	v_fma_f64 v[30:31], v[54:55], 2.0, -v[34:35]
	;; [unrolled: 1-line block ×4, first 2 shown]
	v_add_f64 v[40:41], v[56:57], -v[40:41]
	v_add_f64 v[42:43], v[58:59], -v[42:43]
	v_mad_u32_u24 v64, v20, 48, v23
	ds_write_b128 v64, v[28:31]
	ds_write_b128 v64, v[48:51] offset:16
	ds_write_b128 v64, v[32:35] offset:32
	;; [unrolled: 1-line block ×3, first 2 shown]
	v_lshl_add_u32 v28, v22, 6, 0
	v_fma_f64 v[52:53], v[56:57], 2.0, -v[40:41]
	v_fma_f64 v[54:55], v[58:59], 2.0, -v[42:43]
	;; [unrolled: 1-line block ×4, first 2 shown]
	v_add_u32_e32 v29, v28, v25
	ds_write_b128 v29, v[52:55]
	ds_write_b128 v29, v[56:59] offset:16
	ds_write_b128 v29, v[40:43] offset:32
	;; [unrolled: 1-line block ×3, first 2 shown]
	s_and_saveexec_b64 s[4:5], vcc
	s_cbranch_execz .LBB0_14
; %bb.13:
	v_add_f64 v[29:30], v[2:3], -v[6:7]
	v_add_f64 v[6:7], v[10:11], -v[14:15]
	;; [unrolled: 1-line block ×4, first 2 shown]
	v_fma_f64 v[12:13], v[2:3], 2.0, -v[29:30]
	v_fma_f64 v[10:11], v[10:11], 2.0, -v[6:7]
	;; [unrolled: 1-line block ×4, first 2 shown]
	v_add_f64 v[2:3], v[29:30], -v[4:5]
	v_add_f64 v[0:1], v[14:15], v[6:7]
	v_add_f64 v[6:7], v[12:13], -v[10:11]
	v_add_f64 v[4:5], v[31:32], -v[8:9]
	v_fma_f64 v[10:11], v[29:30], 2.0, -v[2:3]
	v_fma_f64 v[8:9], v[14:15], 2.0, -v[0:1]
	v_lshlrev_b32_e32 v29, 6, v24
	v_add3_u32 v29, 0, v29, v25
	v_fma_f64 v[14:15], v[12:13], 2.0, -v[6:7]
	v_fma_f64 v[12:13], v[31:32], 2.0, -v[4:5]
	ds_write_b128 v29, v[8:11] offset:16
	ds_write_b128 v29, v[4:7] offset:32
	ds_write_b128 v29, v[12:15]
	ds_write_b128 v29, v[0:3] offset:48
.LBB0_14:
	s_or_b64 exec, exec, s[4:5]
	v_and_b32_e32 v2, 3, v20
	v_mul_u32_u24_e32 v0, 9, v2
	v_lshlrev_b32_e32 v0, 4, v0
	s_waitcnt lgkmcnt(0)
	s_barrier
	global_load_dwordx4 v[3:6], v0, s[12:13]
	global_load_dwordx4 v[7:10], v0, s[12:13] offset:16
	global_load_dwordx4 v[11:14], v0, s[12:13] offset:32
	global_load_dwordx4 v[29:32], v0, s[12:13] offset:48
	global_load_dwordx4 v[33:36], v0, s[12:13] offset:64
	global_load_dwordx4 v[37:40], v0, s[12:13] offset:80
	global_load_dwordx4 v[41:44], v0, s[12:13] offset:96
	global_load_dwordx4 v[45:48], v0, s[12:13] offset:112
	global_load_dwordx4 v[49:52], v0, s[12:13] offset:128
	v_mul_i32_i24_e32 v0, 0xffffffd0, v22
	v_add3_u32 v0, v28, v0, v25
	ds_read_b128 v[53:56], v0
	v_lshlrev_b32_e32 v1, 4, v24
	v_add3_u32 v1, 0, v1, v25
	ds_read_b128 v[57:60], v1
	ds_read_b128 v[61:64], v23 offset:2560
	ds_read_b128 v[65:68], v23 offset:3200
	;; [unrolled: 1-line block ×3, first 2 shown]
	s_mov_b32 s16, 0x134454ff
	s_mov_b32 s17, 0xbfee6f0e
	;; [unrolled: 1-line block ×16, first 2 shown]
	v_lshrrev_b32_e32 v15, 2, v20
	v_mul_u32_u24_e32 v15, 40, v15
	v_or_b32_e32 v2, v15, v2
	v_lshlrev_b32_e32 v2, 4, v2
	v_add3_u32 v2, 0, v2, v25
	v_cmp_ne_u32_e32 vcc, 0, v20
	s_waitcnt vmcnt(8) lgkmcnt(4)
	v_mul_f64 v[73:74], v[55:56], v[5:6]
	v_mul_f64 v[5:6], v[53:54], v[5:6]
	s_waitcnt vmcnt(7) lgkmcnt(3)
	v_mul_f64 v[75:76], v[59:60], v[9:10]
	v_mul_f64 v[9:10], v[57:58], v[9:10]
	v_fma_f64 v[73:74], v[53:54], v[3:4], v[73:74]
	v_fma_f64 v[77:78], v[55:56], v[3:4], -v[5:6]
	ds_read_b128 v[3:6], v27
	s_waitcnt vmcnt(6) lgkmcnt(1)
	v_mul_f64 v[53:54], v[71:72], v[13:14]
	v_mul_f64 v[13:14], v[69:70], v[13:14]
	s_waitcnt vmcnt(5)
	v_mul_f64 v[55:56], v[63:64], v[31:32]
	v_mul_f64 v[31:32], v[61:62], v[31:32]
	v_fma_f64 v[57:58], v[57:58], v[7:8], v[75:76]
	s_waitcnt vmcnt(4)
	v_mul_f64 v[75:76], v[67:68], v[35:36]
	v_mul_f64 v[35:36], v[65:66], v[35:36]
	v_fma_f64 v[59:60], v[59:60], v[7:8], -v[9:10]
	v_fma_f64 v[69:70], v[69:70], v[11:12], v[53:54]
	v_fma_f64 v[71:72], v[71:72], v[11:12], -v[13:14]
	ds_read_b128 v[7:10], v23 offset:3840
	ds_read_b128 v[11:14], v23 offset:4480
	v_fma_f64 v[61:62], v[61:62], v[29:30], v[55:56]
	v_fma_f64 v[63:64], v[63:64], v[29:30], -v[31:32]
	ds_read_b128 v[28:31], v23 offset:5120
	ds_read_b128 v[53:56], v23 offset:5760
	s_waitcnt vmcnt(3) lgkmcnt(3)
	v_mul_f64 v[79:80], v[9:10], v[39:40]
	v_fma_f64 v[65:66], v[65:66], v[33:34], v[75:76]
	v_fma_f64 v[32:33], v[67:68], v[33:34], -v[35:36]
	v_mul_f64 v[34:35], v[7:8], v[39:40]
	s_waitcnt vmcnt(1) lgkmcnt(1)
	v_mul_f64 v[67:68], v[30:31], v[47:48]
	v_mul_f64 v[47:48], v[28:29], v[47:48]
	;; [unrolled: 1-line block ×3, first 2 shown]
	v_add_f64 v[75:76], v[59:60], -v[63:64]
	v_fma_f64 v[7:8], v[7:8], v[37:38], v[79:80]
	v_add_f64 v[81:82], v[63:64], -v[59:60]
	s_waitcnt lgkmcnt(0)
	v_fma_f64 v[9:10], v[9:10], v[37:38], -v[34:35]
	v_mul_f64 v[34:35], v[11:12], v[43:44]
	s_waitcnt vmcnt(0)
	v_mul_f64 v[36:37], v[55:56], v[51:52]
	v_mul_f64 v[43:44], v[53:54], v[51:52]
	v_fma_f64 v[28:29], v[28:29], v[45:46], v[67:68]
	v_fma_f64 v[30:31], v[30:31], v[45:46], -v[47:48]
	v_fma_f64 v[11:12], v[11:12], v[41:42], v[39:40]
	v_add_f64 v[38:39], v[61:62], v[7:8]
	v_add_f64 v[46:47], v[3:4], v[57:58]
	v_fma_f64 v[13:14], v[13:14], v[41:42], -v[34:35]
	v_fma_f64 v[34:35], v[53:54], v[49:50], v[36:37]
	v_fma_f64 v[36:37], v[55:56], v[49:50], -v[43:44]
	v_add_f64 v[40:41], v[57:58], v[28:29]
	v_add_f64 v[42:43], v[63:64], v[9:10]
	;; [unrolled: 1-line block ×4, first 2 shown]
	v_add_f64 v[50:51], v[57:58], -v[61:62]
	v_add_f64 v[52:53], v[28:29], -v[7:8]
	;; [unrolled: 1-line block ×3, first 2 shown]
	v_fma_f64 v[38:39], v[38:39], -0.5, v[3:4]
	v_fma_f64 v[3:4], v[40:41], -0.5, v[3:4]
	;; [unrolled: 1-line block ×4, first 2 shown]
	v_add_f64 v[42:43], v[9:10], -v[30:31]
	v_add_f64 v[44:45], v[61:62], -v[7:8]
	v_add_f64 v[50:51], v[50:51], v[52:53]
	v_add_f64 v[52:53], v[63:64], -v[9:10]
	v_add_f64 v[56:57], v[57:58], -v[28:29]
	;; [unrolled: 1-line block ×3, first 2 shown]
	v_add_f64 v[46:47], v[46:47], v[61:62]
	v_add_f64 v[60:61], v[65:66], v[11:12]
	;; [unrolled: 1-line block ×3, first 2 shown]
	v_add_f64 v[67:68], v[7:8], -v[28:29]
	v_add_f64 v[79:80], v[30:31], -v[9:10]
	;; [unrolled: 1-line block ×3, first 2 shown]
	v_add_f64 v[42:43], v[81:82], v[42:43]
	v_fma_f64 v[81:82], v[58:59], s[16:17], v[38:39]
	v_add_f64 v[7:8], v[46:47], v[7:8]
	v_fma_f64 v[60:61], v[60:61], -0.5, v[73:74]
	v_fma_f64 v[38:39], v[58:59], s[6:7], v[38:39]
	v_add_f64 v[9:10], v[48:49], v[9:10]
	v_fma_f64 v[48:49], v[52:53], s[6:7], v[3:4]
	v_fma_f64 v[3:4], v[52:53], s[16:17], v[3:4]
	v_add_f64 v[54:55], v[54:55], v[67:68]
	v_add_f64 v[67:68], v[69:70], -v[65:66]
	v_add_f64 v[75:76], v[75:76], v[79:80]
	v_add_f64 v[79:80], v[34:35], -v[11:12]
	v_add_f64 v[46:47], v[32:33], -v[13:14]
	v_add_f64 v[7:8], v[7:8], v[28:29]
	v_fma_f64 v[28:29], v[56:57], s[6:7], v[40:41]
	v_fma_f64 v[40:41], v[56:57], s[16:17], v[40:41]
	;; [unrolled: 1-line block ×10, first 2 shown]
	v_add_f64 v[9:10], v[9:10], v[30:31]
	v_fma_f64 v[28:29], v[44:45], s[4:5], v[28:29]
	v_fma_f64 v[30:31], v[44:45], s[8:9], v[40:41]
	;; [unrolled: 1-line block ×5, first 2 shown]
	v_add_f64 v[52:53], v[69:70], v[34:35]
	v_fma_f64 v[56:57], v[50:51], s[14:15], v[38:39]
	v_fma_f64 v[38:39], v[54:55], s[14:15], v[48:49]
	v_add_f64 v[48:49], v[67:68], v[79:80]
	v_fma_f64 v[50:51], v[46:47], s[8:9], v[58:59]
	v_fma_f64 v[58:59], v[46:47], s[4:5], v[60:61]
	;; [unrolled: 1-line block ×4, first 2 shown]
	v_fma_f64 v[3:4], v[52:53], -0.5, v[73:74]
	v_fma_f64 v[67:68], v[75:76], s[14:15], v[30:31]
	v_fma_f64 v[52:53], v[42:43], s[14:15], v[5:6]
	v_add_f64 v[28:29], v[32:33], v[13:14]
	v_fma_f64 v[5:6], v[48:49], s[14:15], v[50:51]
	v_add_f64 v[30:31], v[73:74], v[69:70]
	v_add_f64 v[50:51], v[71:72], v[36:37]
	v_fma_f64 v[40:41], v[42:43], s[14:15], v[40:41]
	v_fma_f64 v[42:43], v[48:49], s[14:15], v[58:59]
	v_fma_f64 v[48:49], v[46:47], s[6:7], v[3:4]
	v_fma_f64 v[3:4], v[46:47], s[16:17], v[3:4]
	v_add_f64 v[46:47], v[65:66], -v[69:70]
	v_add_f64 v[58:59], v[11:12], -v[34:35]
	;; [unrolled: 1-line block ×3, first 2 shown]
	v_fma_f64 v[28:29], v[28:29], -0.5, v[77:78]
	v_add_f64 v[30:31], v[30:31], v[65:66]
	v_add_f64 v[64:65], v[65:66], -v[11:12]
	v_fma_f64 v[50:51], v[50:51], -0.5, v[77:78]
	v_add_f64 v[73:74], v[71:72], -v[32:33]
	v_add_f64 v[75:76], v[36:37], -v[13:14]
	v_add_f64 v[77:78], v[77:78], v[71:72]
	v_add_f64 v[71:72], v[32:33], -v[71:72]
	v_fma_f64 v[79:80], v[69:70], s[6:7], v[28:29]
	v_add_f64 v[81:82], v[13:14], -v[36:37]
	v_add_f64 v[46:47], v[46:47], v[58:59]
	v_fma_f64 v[58:59], v[64:65], s[16:17], v[50:51]
	v_fma_f64 v[50:51], v[64:65], s[6:7], v[50:51]
	v_add_f64 v[11:12], v[30:31], v[11:12]
	v_add_f64 v[30:31], v[73:74], v[75:76]
	;; [unrolled: 1-line block ×3, first 2 shown]
	v_fma_f64 v[73:74], v[64:65], s[4:5], v[79:80]
	v_add_f64 v[71:72], v[71:72], v[81:82]
	v_fma_f64 v[28:29], v[69:70], s[16:17], v[28:29]
	v_fma_f64 v[58:59], v[69:70], s[4:5], v[58:59]
	;; [unrolled: 1-line block ×5, first 2 shown]
	v_add_f64 v[13:14], v[32:33], v[13:14]
	v_fma_f64 v[32:33], v[30:31], s[14:15], v[73:74]
	v_add_f64 v[11:12], v[11:12], v[34:35]
	v_fma_f64 v[28:29], v[64:65], s[8:9], v[28:29]
	v_fma_f64 v[34:35], v[71:72], s[14:15], v[58:59]
	;; [unrolled: 1-line block ×5, first 2 shown]
	v_add_f64 v[13:14], v[13:14], v[36:37]
	v_mul_f64 v[3:4], v[32:33], s[8:9]
	v_mul_f64 v[32:33], v[32:33], s[18:19]
	v_fma_f64 v[28:29], v[30:31], s[14:15], v[28:29]
	v_mul_f64 v[36:37], v[34:35], s[16:17]
	v_mul_f64 v[58:59], v[50:51], s[16:17]
	;; [unrolled: 1-line block ×4, first 2 shown]
	s_barrier
	v_fma_f64 v[30:31], v[5:6], s[18:19], v[3:4]
	v_fma_f64 v[32:33], v[5:6], s[4:5], v[32:33]
	v_add_f64 v[3:4], v[7:8], v[11:12]
	v_fma_f64 v[36:37], v[48:49], s[14:15], v[36:37]
	v_fma_f64 v[58:59], v[46:47], s[20:21], v[58:59]
	v_fma_f64 v[48:49], v[48:49], s[6:7], v[34:35]
	v_fma_f64 v[46:47], v[46:47], s[6:7], v[50:51]
	v_mul_f64 v[34:35], v[28:29], s[8:9]
	v_mul_f64 v[50:51], v[28:29], s[22:23]
	v_add_f64 v[5:6], v[9:10], v[13:14]
	v_add_f64 v[7:8], v[7:8], -v[11:12]
	v_add_f64 v[9:10], v[9:10], -v[13:14]
	v_add_f64 v[11:12], v[44:45], v[30:31]
	v_add_f64 v[13:14], v[60:61], v[32:33]
	v_add_f64 v[28:29], v[44:45], -v[30:31]
	v_add_f64 v[30:31], v[60:61], -v[32:33]
	v_fma_f64 v[60:61], v[42:43], s[22:23], v[34:35]
	v_fma_f64 v[62:63], v[42:43], s[4:5], v[50:51]
	v_add_f64 v[32:33], v[38:39], v[36:37]
	v_add_f64 v[34:35], v[40:41], v[48:49]
	v_add_f64 v[36:37], v[38:39], -v[36:37]
	v_add_f64 v[38:39], v[40:41], -v[48:49]
	v_add_f64 v[40:41], v[54:55], v[58:59]
	v_add_f64 v[42:43], v[52:53], v[46:47]
	;; [unrolled: 1-line block ×4, first 2 shown]
	v_add_f64 v[44:45], v[54:55], -v[58:59]
	v_add_f64 v[46:47], v[52:53], -v[46:47]
	;; [unrolled: 1-line block ×4, first 2 shown]
	ds_write_b128 v2, v[3:6]
	ds_write_b128 v2, v[11:14] offset:64
	ds_write_b128 v2, v[32:35] offset:128
	;; [unrolled: 1-line block ×9, first 2 shown]
	v_mul_u32_u24_e32 v2, 9, v20
	v_lshlrev_b32_e32 v14, 4, v2
	s_waitcnt lgkmcnt(0)
	s_barrier
	global_load_dwordx4 v[2:5], v14, s[12:13] offset:576
	global_load_dwordx4 v[6:9], v14, s[12:13] offset:592
	;; [unrolled: 1-line block ×9, first 2 shown]
	ds_read_b128 v[52:55], v0
	ds_read_b128 v[56:59], v1
	s_waitcnt vmcnt(8) lgkmcnt(1)
	v_mul_f64 v[0:1], v[54:55], v[4:5]
	v_mul_f64 v[4:5], v[52:53], v[4:5]
	v_fma_f64 v[64:65], v[52:53], v[2:3], v[0:1]
	v_fma_f64 v[66:67], v[54:55], v[2:3], -v[4:5]
	ds_read_b128 v[0:3], v23 offset:1920
	ds_read_b128 v[52:55], v23 offset:2560
	ds_read_b128 v[60:63], v27
	s_waitcnt vmcnt(7) lgkmcnt(3)
	v_mul_f64 v[4:5], v[58:59], v[8:9]
	v_mul_f64 v[8:9], v[56:57], v[8:9]
	s_waitcnt vmcnt(6) lgkmcnt(2)
	v_mul_f64 v[68:69], v[2:3], v[12:13]
	v_mul_f64 v[70:71], v[0:1], v[12:13]
	s_waitcnt vmcnt(5) lgkmcnt(1)
	v_mul_f64 v[72:73], v[54:55], v[30:31]
	ds_read_b128 v[12:15], v23 offset:3200
	v_mul_f64 v[30:31], v[52:53], v[30:31]
	v_fma_f64 v[56:57], v[56:57], v[6:7], v[4:5]
	v_fma_f64 v[58:59], v[58:59], v[6:7], -v[8:9]
	ds_read_b128 v[4:7], v23 offset:5120
	v_fma_f64 v[68:69], v[0:1], v[10:11], v[68:69]
	v_fma_f64 v[70:71], v[2:3], v[10:11], -v[70:71]
	ds_read_b128 v[8:11], v23 offset:4480
	ds_read_b128 v[0:3], v23 offset:3840
	v_fma_f64 v[52:53], v[52:53], v[28:29], v[72:73]
	s_waitcnt vmcnt(3) lgkmcnt(2)
	v_mul_f64 v[74:75], v[6:7], v[38:39]
	v_mul_f64 v[38:39], v[4:5], v[38:39]
	s_waitcnt vmcnt(2)
	v_mul_f64 v[76:77], v[14:15], v[42:43]
	s_waitcnt lgkmcnt(0)
	v_mul_f64 v[72:73], v[2:3], v[34:35]
	v_mul_f64 v[42:43], v[12:13], v[42:43]
	v_fma_f64 v[54:55], v[54:55], v[28:29], -v[30:31]
	ds_read_b128 v[28:31], v23 offset:5760
	s_waitcnt lgkmcnt(0)
	v_fma_f64 v[4:5], v[4:5], v[36:37], v[74:75]
	v_fma_f64 v[6:7], v[6:7], v[36:37], -v[38:39]
	v_fma_f64 v[12:13], v[12:13], v[40:41], v[76:77]
	v_fma_f64 v[72:73], v[0:1], v[32:33], v[72:73]
	v_mul_f64 v[0:1], v[0:1], v[34:35]
	s_waitcnt vmcnt(1)
	v_mul_f64 v[34:35], v[10:11], v[46:47]
	v_fma_f64 v[14:15], v[14:15], v[40:41], -v[42:43]
	v_add_f64 v[40:41], v[56:57], -v[52:53]
	s_waitcnt vmcnt(0)
	s_barrier
	v_add_f64 v[38:39], v[58:59], -v[6:7]
	v_add_f64 v[36:37], v[52:53], v[72:73]
	v_fma_f64 v[0:1], v[2:3], v[32:33], -v[0:1]
	v_mul_f64 v[2:3], v[8:9], v[46:47]
	v_fma_f64 v[8:9], v[8:9], v[44:45], v[34:35]
	v_add_f64 v[32:33], v[56:57], v[4:5]
	v_mul_f64 v[34:35], v[30:31], v[50:51]
	v_add_f64 v[42:43], v[4:5], -v[72:73]
	v_add_f64 v[46:47], v[72:73], -v[4:5]
	v_fma_f64 v[36:37], v[36:37], -0.5, v[60:61]
	v_fma_f64 v[2:3], v[10:11], v[44:45], -v[2:3]
	v_mul_f64 v[10:11], v[28:29], v[50:51]
	v_fma_f64 v[32:33], v[32:33], -0.5, v[60:61]
	v_add_f64 v[44:45], v[54:55], -v[0:1]
	v_fma_f64 v[28:29], v[28:29], v[48:49], v[34:35]
	v_add_f64 v[40:41], v[40:41], v[42:43]
	v_fma_f64 v[34:35], v[38:39], s[16:17], v[36:37]
	v_fma_f64 v[36:37], v[38:39], s[6:7], v[36:37]
	v_add_f64 v[42:43], v[52:53], -v[56:57]
	v_add_f64 v[50:51], v[60:61], v[56:57]
	v_fma_f64 v[10:11], v[30:31], v[48:49], -v[10:11]
	v_fma_f64 v[60:61], v[44:45], s[6:7], v[32:33]
	v_fma_f64 v[32:33], v[44:45], s[16:17], v[32:33]
	;; [unrolled: 1-line block ×4, first 2 shown]
	v_add_f64 v[44:45], v[54:55], v[0:1]
	v_add_f64 v[30:31], v[42:43], v[46:47]
	;; [unrolled: 1-line block ×3, first 2 shown]
	v_fma_f64 v[46:47], v[38:39], s[8:9], v[60:61]
	v_fma_f64 v[32:33], v[38:39], s[4:5], v[32:33]
	v_add_f64 v[38:39], v[58:59], v[6:7]
	v_fma_f64 v[34:35], v[40:41], s[14:15], v[34:35]
	v_fma_f64 v[48:49], v[40:41], s[14:15], v[36:37]
	v_fma_f64 v[36:37], v[44:45], -0.5, v[62:63]
	v_add_f64 v[40:41], v[62:63], v[58:59]
	v_add_f64 v[42:43], v[42:43], v[72:73]
	v_add_f64 v[44:45], v[56:57], -v[4:5]
	v_add_f64 v[50:51], v[58:59], -v[54:55]
	;; [unrolled: 1-line block ×3, first 2 shown]
	v_fma_f64 v[46:47], v[30:31], s[14:15], v[46:47]
	v_fma_f64 v[60:61], v[30:31], s[14:15], v[32:33]
	v_fma_f64 v[30:31], v[38:39], -0.5, v[62:63]
	v_add_f64 v[32:33], v[52:53], -v[72:73]
	v_add_f64 v[38:39], v[42:43], v[4:5]
	v_fma_f64 v[4:5], v[44:45], s[6:7], v[36:37]
	v_add_f64 v[40:41], v[40:41], v[54:55]
	v_add_f64 v[42:43], v[50:51], v[56:57]
	v_fma_f64 v[36:37], v[44:45], s[16:17], v[36:37]
	v_add_f64 v[50:51], v[12:13], v[8:9]
	v_add_f64 v[52:53], v[54:55], -v[58:59]
	v_fma_f64 v[54:55], v[32:33], s[16:17], v[30:31]
	v_add_f64 v[56:57], v[0:1], -v[6:7]
	v_fma_f64 v[4:5], v[32:33], s[4:5], v[4:5]
	v_add_f64 v[0:1], v[40:41], v[0:1]
	v_fma_f64 v[30:31], v[32:33], s[6:7], v[30:31]
	v_fma_f64 v[32:33], v[32:33], s[8:9], v[36:37]
	v_fma_f64 v[36:37], v[50:51], -0.5, v[64:65]
	v_add_f64 v[40:41], v[70:71], -v[10:11]
	v_fma_f64 v[50:51], v[44:45], s[4:5], v[54:55]
	v_add_f64 v[52:53], v[52:53], v[56:57]
	v_add_f64 v[58:59], v[14:15], -v[2:3]
	v_add_f64 v[6:7], v[0:1], v[6:7]
	v_fma_f64 v[0:1], v[44:45], s[8:9], v[30:31]
	v_add_f64 v[30:31], v[68:69], -v[12:13]
	v_add_f64 v[44:45], v[28:29], -v[8:9]
	v_fma_f64 v[56:57], v[40:41], s[16:17], v[36:37]
	v_fma_f64 v[36:37], v[40:41], s[6:7], v[36:37]
	v_add_f64 v[54:55], v[68:69], v[28:29]
	v_fma_f64 v[62:63], v[42:43], s[14:15], v[4:5]
	v_fma_f64 v[72:73], v[42:43], s[14:15], v[32:33]
	;; [unrolled: 1-line block ×4, first 2 shown]
	v_add_f64 v[0:1], v[30:31], v[44:45]
	v_add_f64 v[44:45], v[14:15], v[2:3]
	v_fma_f64 v[30:31], v[58:59], s[4:5], v[36:37]
	v_add_f64 v[36:37], v[70:71], v[10:11]
	v_fma_f64 v[54:55], v[54:55], -0.5, v[64:65]
	v_fma_f64 v[4:5], v[58:59], s[8:9], v[56:57]
	v_add_f64 v[52:53], v[64:65], v[68:69]
	v_add_f64 v[56:57], v[12:13], -v[68:69]
	v_add_f64 v[64:65], v[68:69], -v[28:29]
	;; [unrolled: 1-line block ×3, first 2 shown]
	v_fma_f64 v[44:45], v[44:45], -0.5, v[66:67]
	v_fma_f64 v[36:37], v[36:37], -0.5, v[66:67]
	v_fma_f64 v[32:33], v[58:59], s[6:7], v[54:55]
	v_fma_f64 v[54:55], v[58:59], s[16:17], v[54:55]
	v_add_f64 v[58:59], v[8:9], -v[28:29]
	v_add_f64 v[12:13], v[52:53], v[12:13]
	v_add_f64 v[52:53], v[70:71], -v[14:15]
	v_add_f64 v[74:75], v[10:11], -v[2:3]
	v_add_f64 v[66:67], v[66:67], v[70:71]
	v_add_f64 v[70:71], v[14:15], -v[70:71]
	v_add_f64 v[76:77], v[2:3], -v[10:11]
	v_fma_f64 v[78:79], v[68:69], s[16:17], v[36:37]
	v_fma_f64 v[80:81], v[64:65], s[6:7], v[44:45]
	;; [unrolled: 1-line block ×3, first 2 shown]
	v_add_f64 v[56:57], v[56:57], v[58:59]
	v_add_f64 v[8:9], v[12:13], v[8:9]
	;; [unrolled: 1-line block ×5, first 2 shown]
	v_fma_f64 v[58:59], v[64:65], s[4:5], v[78:79]
	v_fma_f64 v[66:67], v[68:69], s[4:5], v[80:81]
	;; [unrolled: 1-line block ×5, first 2 shown]
	v_add_f64 v[8:9], v[8:9], v[28:29]
	v_add_f64 v[2:3], v[14:15], v[2:3]
	v_fma_f64 v[4:5], v[0:1], s[14:15], v[4:5]
	v_fma_f64 v[14:15], v[52:53], s[14:15], v[58:59]
	;; [unrolled: 1-line block ×8, first 2 shown]
	v_add_f64 v[10:11], v[2:3], v[10:11]
	v_mul_f64 v[44:45], v[14:15], s[16:17]
	v_mul_f64 v[2:3], v[28:29], s[8:9]
	;; [unrolled: 1-line block ×3, first 2 shown]
	v_fma_f64 v[12:13], v[12:13], s[14:15], v[0:1]
	v_mul_f64 v[14:15], v[14:15], s[14:15]
	v_fma_f64 v[40:41], v[56:57], s[14:15], v[40:41]
	v_mul_f64 v[52:53], v[36:37], s[16:17]
	v_mul_f64 v[36:37], v[36:37], s[20:21]
	v_fma_f64 v[44:45], v[32:33], s[14:15], v[44:45]
	v_fma_f64 v[54:55], v[4:5], s[18:19], v[2:3]
	;; [unrolled: 1-line block ×3, first 2 shown]
	v_mul_f64 v[28:29], v[12:13], s[8:9]
	v_fma_f64 v[58:59], v[32:33], s[6:7], v[14:15]
	v_mul_f64 v[14:15], v[12:13], s[22:23]
	v_fma_f64 v[52:53], v[40:41], s[20:21], v[52:53]
	v_fma_f64 v[64:65], v[40:41], s[6:7], v[36:37]
	v_add_f64 v[0:1], v[38:39], v[8:9]
	v_add_f64 v[2:3], v[6:7], v[10:11]
	;; [unrolled: 1-line block ×3, first 2 shown]
	v_fma_f64 v[66:67], v[30:31], s[22:23], v[28:29]
	v_add_f64 v[10:11], v[6:7], -v[10:11]
	v_fma_f64 v[68:69], v[30:31], s[4:5], v[14:15]
	v_add_f64 v[6:7], v[62:63], v[56:57]
	v_add_f64 v[12:13], v[46:47], v[44:45]
	;; [unrolled: 1-line block ×3, first 2 shown]
	v_add_f64 v[28:29], v[34:35], -v[54:55]
	v_add_f64 v[32:33], v[60:61], v[52:53]
	v_add_f64 v[34:35], v[50:51], v[64:65]
	v_add_f64 v[8:9], v[38:39], -v[8:9]
	v_add_f64 v[38:39], v[42:43], -v[58:59]
	v_add_f64 v[40:41], v[48:49], v[66:67]
	v_add_f64 v[42:43], v[72:73], v[68:69]
	v_add_f64 v[30:31], v[62:63], -v[56:57]
	v_add_f64 v[36:37], v[46:47], -v[44:45]
	;; [unrolled: 1-line block ×6, first 2 shown]
	ds_write_b128 v23, v[0:3]
	ds_write_b128 v23, v[4:7] offset:640
	ds_write_b128 v23, v[12:15] offset:1280
	;; [unrolled: 1-line block ×9, first 2 shown]
	s_waitcnt lgkmcnt(0)
	s_barrier
	ds_read_b128 v[4:7], v27
	s_add_u32 s6, s12, 0x18c0
	s_addc_u32 s7, s13, 0
	v_sub_u32_e32 v14, v26, v21
                                        ; implicit-def: $vgpr0_vgpr1
                                        ; implicit-def: $vgpr10_vgpr11
                                        ; implicit-def: $vgpr12_vgpr13
                                        ; implicit-def: $vgpr8_vgpr9
	s_and_saveexec_b64 s[4:5], vcc
	s_xor_b64 s[4:5], exec, s[4:5]
	s_cbranch_execz .LBB0_16
; %bb.15:
	v_mov_b32_e32 v21, 0
	v_lshlrev_b64 v[0:1], 4, v[20:21]
	v_mov_b32_e32 v2, s7
	v_add_co_u32_e32 v0, vcc, s6, v0
	v_addc_co_u32_e32 v1, vcc, v2, v1, vcc
	global_load_dwordx4 v[8:11], v[0:1], off
	ds_read_b128 v[0:3], v14 offset:6400
	s_waitcnt lgkmcnt(0)
	v_add_f64 v[12:13], v[4:5], -v[0:1]
	v_add_f64 v[28:29], v[6:7], v[2:3]
	v_add_f64 v[2:3], v[6:7], -v[2:3]
	v_add_f64 v[0:1], v[4:5], v[0:1]
	v_mul_f64 v[6:7], v[12:13], 0.5
	v_mul_f64 v[4:5], v[28:29], 0.5
	;; [unrolled: 1-line block ×3, first 2 shown]
	s_waitcnt vmcnt(0)
	v_mul_f64 v[12:13], v[6:7], v[10:11]
	v_fma_f64 v[28:29], v[4:5], v[10:11], v[2:3]
	v_fma_f64 v[2:3], v[4:5], v[10:11], -v[2:3]
	v_fma_f64 v[30:31], v[0:1], 0.5, v[12:13]
	v_fma_f64 v[0:1], v[0:1], 0.5, -v[12:13]
	v_fma_f64 v[12:13], -v[8:9], v[6:7], v[28:29]
	v_fma_f64 v[2:3], -v[8:9], v[6:7], v[2:3]
	v_fma_f64 v[10:11], v[4:5], v[8:9], v[30:31]
	v_fma_f64 v[0:1], -v[4:5], v[8:9], v[0:1]
	v_mov_b32_e32 v8, v20
	v_mov_b32_e32 v9, v21
                                        ; implicit-def: $vgpr4_vgpr5
.LBB0_16:
	s_andn2_saveexec_b64 s[4:5], s[4:5]
	s_cbranch_execz .LBB0_18
; %bb.17:
	s_waitcnt lgkmcnt(0)
	v_add_f64 v[10:11], v[4:5], v[6:7]
	ds_read_b64 v[2:3], v26 offset:3208
	v_add_f64 v[0:1], v[4:5], -v[6:7]
	v_mov_b32_e32 v12, 0
	v_mov_b32_e32 v13, 0
	;; [unrolled: 1-line block ×3, first 2 shown]
	s_waitcnt lgkmcnt(0)
	v_xor_b32_e32 v3, 0x80000000, v3
	ds_write_b64 v26, v[2:3] offset:3208
	v_mov_b32_e32 v2, v12
	v_mov_b32_e32 v9, 0
	;; [unrolled: 1-line block ×3, first 2 shown]
.LBB0_18:
	s_or_b64 exec, exec, s[4:5]
	v_mov_b32_e32 v23, 0
	s_waitcnt lgkmcnt(0)
	v_lshlrev_b64 v[4:5], 4, v[22:23]
	v_mov_b32_e32 v6, s7
	v_add_co_u32_e32 v4, vcc, s6, v4
	v_addc_co_u32_e32 v5, vcc, v6, v5, vcc
	global_load_dwordx4 v[4:7], v[4:5], off
	v_mov_b32_e32 v25, v23
	v_lshlrev_b64 v[28:29], 4, v[24:25]
	v_mov_b32_e32 v15, s7
	v_add_co_u32_e32 v28, vcc, s6, v28
	v_addc_co_u32_e32 v29, vcc, v15, v29, vcc
	global_load_dwordx4 v[28:31], v[28:29], off
	ds_write2_b64 v27, v[10:11], v[12:13] offset1:1
	ds_write_b128 v14, v[0:3] offset:6400
	v_lshl_add_u32 v15, v22, 4, v26
	ds_read_b128 v[0:3], v15
	ds_read_b128 v[10:13], v14 offset:5760
	v_lshlrev_b64 v[8:9], 4, v[8:9]
	v_mov_b32_e32 v25, s7
	v_add_co_u32_e32 v36, vcc, s6, v8
	s_waitcnt lgkmcnt(0)
	v_add_f64 v[21:22], v[0:1], -v[10:11]
	v_add_f64 v[32:33], v[2:3], v[12:13]
	v_add_f64 v[2:3], v[2:3], -v[12:13]
	v_add_f64 v[0:1], v[0:1], v[10:11]
	v_addc_co_u32_e32 v37, vcc, v25, v9, vcc
	v_mul_f64 v[12:13], v[21:22], 0.5
	v_mul_f64 v[21:22], v[32:33], 0.5
	;; [unrolled: 1-line block ×3, first 2 shown]
	s_waitcnt vmcnt(1)
	v_mul_f64 v[10:11], v[12:13], v[6:7]
	v_fma_f64 v[32:33], v[21:22], v[6:7], v[2:3]
	v_fma_f64 v[6:7], v[21:22], v[6:7], -v[2:3]
	v_fma_f64 v[34:35], v[0:1], 0.5, v[10:11]
	v_fma_f64 v[10:11], v[0:1], 0.5, -v[10:11]
	global_load_dwordx4 v[0:3], v[36:37], off offset:1920
	v_fma_f64 v[8:9], -v[4:5], v[12:13], v[32:33]
	v_fma_f64 v[6:7], -v[4:5], v[12:13], v[6:7]
	v_lshl_add_u32 v32, v24, 4, v26
	v_fma_f64 v[12:13], v[21:22], v[4:5], v[34:35]
	v_fma_f64 v[4:5], -v[21:22], v[4:5], v[10:11]
	ds_write2_b64 v15, v[12:13], v[8:9] offset1:1
	ds_write_b128 v14, v[4:7] offset:5760
	ds_read_b128 v[4:7], v32
	ds_read_b128 v[8:11], v14 offset:5120
	s_waitcnt lgkmcnt(0)
	v_add_f64 v[12:13], v[4:5], -v[8:9]
	v_add_f64 v[21:22], v[6:7], v[10:11]
	v_add_f64 v[6:7], v[6:7], -v[10:11]
	v_add_f64 v[4:5], v[4:5], v[8:9]
	v_mul_f64 v[10:11], v[12:13], 0.5
	v_mul_f64 v[12:13], v[21:22], 0.5
	;; [unrolled: 1-line block ×3, first 2 shown]
	s_waitcnt vmcnt(1)
	v_mul_f64 v[8:9], v[10:11], v[30:31]
	v_fma_f64 v[21:22], v[12:13], v[30:31], v[6:7]
	v_fma_f64 v[24:25], v[12:13], v[30:31], -v[6:7]
	v_fma_f64 v[30:31], v[4:5], 0.5, v[8:9]
	v_fma_f64 v[8:9], v[4:5], 0.5, -v[8:9]
	global_load_dwordx4 v[4:7], v[36:37], off offset:2560
	v_fma_f64 v[21:22], -v[28:29], v[10:11], v[21:22]
	v_fma_f64 v[10:11], -v[28:29], v[10:11], v[24:25]
	v_fma_f64 v[24:25], v[12:13], v[28:29], v[30:31]
	v_fma_f64 v[8:9], -v[12:13], v[28:29], v[8:9]
	ds_write2_b64 v32, v[24:25], v[21:22] offset1:1
	ds_write_b128 v14, v[8:11] offset:5120
	ds_read_b128 v[8:11], v27 offset:1920
	ds_read_b128 v[28:31], v14 offset:4480
	s_waitcnt lgkmcnt(0)
	v_add_f64 v[12:13], v[8:9], -v[28:29]
	v_add_f64 v[21:22], v[10:11], v[30:31]
	v_add_f64 v[10:11], v[10:11], -v[30:31]
	v_add_f64 v[8:9], v[8:9], v[28:29]
	v_mul_f64 v[12:13], v[12:13], 0.5
	v_mul_f64 v[21:22], v[21:22], 0.5
	;; [unrolled: 1-line block ×3, first 2 shown]
	s_waitcnt vmcnt(1)
	v_mul_f64 v[24:25], v[12:13], v[2:3]
	v_fma_f64 v[28:29], v[21:22], v[2:3], v[10:11]
	v_fma_f64 v[2:3], v[21:22], v[2:3], -v[10:11]
	v_fma_f64 v[10:11], v[8:9], 0.5, v[24:25]
	v_fma_f64 v[8:9], v[8:9], 0.5, -v[24:25]
	v_fma_f64 v[24:25], -v[0:1], v[12:13], v[28:29]
	v_fma_f64 v[2:3], -v[0:1], v[12:13], v[2:3]
	v_fma_f64 v[10:11], v[21:22], v[0:1], v[10:11]
	v_fma_f64 v[0:1], -v[21:22], v[0:1], v[8:9]
	ds_write2_b64 v27, v[10:11], v[24:25] offset0:240 offset1:241
	ds_write_b128 v14, v[0:3] offset:4480
	ds_read_b128 v[0:3], v27 offset:2560
	ds_read_b128 v[8:11], v14 offset:3840
	s_waitcnt lgkmcnt(0)
	v_add_f64 v[12:13], v[0:1], -v[8:9]
	v_add_f64 v[21:22], v[2:3], v[10:11]
	v_add_f64 v[2:3], v[2:3], -v[10:11]
	v_add_f64 v[0:1], v[0:1], v[8:9]
	v_mul_f64 v[10:11], v[12:13], 0.5
	v_mul_f64 v[12:13], v[21:22], 0.5
	;; [unrolled: 1-line block ×3, first 2 shown]
	s_waitcnt vmcnt(0)
	v_mul_f64 v[8:9], v[10:11], v[6:7]
	v_fma_f64 v[21:22], v[12:13], v[6:7], v[2:3]
	v_fma_f64 v[2:3], v[12:13], v[6:7], -v[2:3]
	v_fma_f64 v[6:7], v[0:1], 0.5, v[8:9]
	v_fma_f64 v[0:1], v[0:1], 0.5, -v[8:9]
	v_fma_f64 v[8:9], -v[4:5], v[10:11], v[21:22]
	v_fma_f64 v[2:3], -v[4:5], v[10:11], v[2:3]
	v_fma_f64 v[6:7], v[12:13], v[4:5], v[6:7]
	v_fma_f64 v[0:1], -v[12:13], v[4:5], v[0:1]
	v_add_u32_e32 v4, 0x800, v27
	ds_write2_b64 v4, v[6:7], v[8:9] offset0:64 offset1:65
	ds_write_b128 v14, v[0:3] offset:3840
	s_waitcnt lgkmcnt(0)
	s_barrier
	s_and_saveexec_b64 s[4:5], s[0:1]
	s_cbranch_execz .LBB0_21
; %bb.19:
	v_mul_lo_u32 v0, s3, v18
	v_mul_lo_u32 v3, s2, v19
	v_mad_u64_u32 v[1:2], s[0:1], s2, v18, 0
	v_mov_b32_e32 v7, s11
	v_mov_b32_e32 v21, v23
	v_add3_u32 v2, v2, v3, v0
	v_lshlrev_b64 v[1:2], 4, v[1:2]
	v_lshl_add_u32 v0, v20, 4, v26
	v_add_co_u32_e32 v1, vcc, s10, v1
	v_addc_co_u32_e32 v9, vcc, v7, v2, vcc
	v_lshlrev_b64 v[7:8], 4, v[16:17]
	ds_read_b128 v[3:6], v0
	v_add_co_u32_e32 v2, vcc, v1, v7
	v_addc_co_u32_e32 v1, vcc, v9, v8, vcc
	v_lshlrev_b64 v[7:8], 4, v[20:21]
	v_add_u32_e32 v22, 40, v20
	v_add_co_u32_e32 v11, vcc, v2, v7
	v_addc_co_u32_e32 v12, vcc, v1, v8, vcc
	ds_read_b128 v[7:10], v0 offset:640
	s_waitcnt lgkmcnt(1)
	global_store_dwordx4 v[11:12], v[3:6], off
	s_nop 0
	v_lshlrev_b64 v[3:4], 4, v[22:23]
	v_add_u32_e32 v22, 0x50, v20
	v_add_co_u32_e32 v3, vcc, v2, v3
	v_addc_co_u32_e32 v4, vcc, v1, v4, vcc
	s_waitcnt lgkmcnt(0)
	global_store_dwordx4 v[3:4], v[7:10], off
	ds_read_b128 v[3:6], v0 offset:1280
	v_lshlrev_b64 v[7:8], 4, v[22:23]
	v_add_u32_e32 v22, 0x78, v20
	v_add_co_u32_e32 v11, vcc, v2, v7
	v_addc_co_u32_e32 v12, vcc, v1, v8, vcc
	ds_read_b128 v[7:10], v0 offset:1920
	s_waitcnt lgkmcnt(1)
	global_store_dwordx4 v[11:12], v[3:6], off
	s_nop 0
	v_lshlrev_b64 v[3:4], 4, v[22:23]
	v_add_u32_e32 v22, 0xa0, v20
	v_add_co_u32_e32 v3, vcc, v2, v3
	v_addc_co_u32_e32 v4, vcc, v1, v4, vcc
	s_waitcnt lgkmcnt(0)
	global_store_dwordx4 v[3:4], v[7:10], off
	ds_read_b128 v[3:6], v0 offset:2560
	;; [unrolled: 15-line block ×4, first 2 shown]
	v_lshlrev_b64 v[7:8], 4, v[22:23]
	v_add_u32_e32 v22, 0x168, v20
	v_add_co_u32_e32 v11, vcc, v2, v7
	v_addc_co_u32_e32 v12, vcc, v1, v8, vcc
	ds_read_b128 v[7:10], v0 offset:5760
	s_waitcnt lgkmcnt(1)
	global_store_dwordx4 v[11:12], v[3:6], off
	s_nop 0
	v_lshlrev_b64 v[3:4], 4, v[22:23]
	v_add_co_u32_e32 v3, vcc, v2, v3
	v_addc_co_u32_e32 v4, vcc, v1, v4, vcc
	v_cmp_eq_u32_e32 vcc, 39, v20
	s_waitcnt lgkmcnt(0)
	global_store_dwordx4 v[3:4], v[7:10], off
	s_and_b64 exec, exec, vcc
	s_cbranch_execz .LBB0_21
; %bb.20:
	ds_read_b128 v[3:6], v0 offset:5776
	v_add_co_u32_e32 v0, vcc, 0x1000, v2
	v_addc_co_u32_e32 v1, vcc, 0, v1, vcc
	s_waitcnt lgkmcnt(0)
	global_store_dwordx4 v[0:1], v[3:6], off offset:2304
.LBB0_21:
	s_endpgm
	.section	.rodata,"a",@progbits
	.p2align	6, 0x0
	.amdhsa_kernel fft_rtc_back_len400_factors_4_10_10_wgs_120_tpt_40_halfLds_dp_op_CI_CI_unitstride_sbrr_R2C_dirReg
		.amdhsa_group_segment_fixed_size 0
		.amdhsa_private_segment_fixed_size 0
		.amdhsa_kernarg_size 104
		.amdhsa_user_sgpr_count 6
		.amdhsa_user_sgpr_private_segment_buffer 1
		.amdhsa_user_sgpr_dispatch_ptr 0
		.amdhsa_user_sgpr_queue_ptr 0
		.amdhsa_user_sgpr_kernarg_segment_ptr 1
		.amdhsa_user_sgpr_dispatch_id 0
		.amdhsa_user_sgpr_flat_scratch_init 0
		.amdhsa_user_sgpr_private_segment_size 0
		.amdhsa_uses_dynamic_stack 0
		.amdhsa_system_sgpr_private_segment_wavefront_offset 0
		.amdhsa_system_sgpr_workgroup_id_x 1
		.amdhsa_system_sgpr_workgroup_id_y 0
		.amdhsa_system_sgpr_workgroup_id_z 0
		.amdhsa_system_sgpr_workgroup_info 0
		.amdhsa_system_vgpr_workitem_id 0
		.amdhsa_next_free_vgpr 83
		.amdhsa_next_free_sgpr 28
		.amdhsa_reserve_vcc 1
		.amdhsa_reserve_flat_scratch 0
		.amdhsa_float_round_mode_32 0
		.amdhsa_float_round_mode_16_64 0
		.amdhsa_float_denorm_mode_32 3
		.amdhsa_float_denorm_mode_16_64 3
		.amdhsa_dx10_clamp 1
		.amdhsa_ieee_mode 1
		.amdhsa_fp16_overflow 0
		.amdhsa_exception_fp_ieee_invalid_op 0
		.amdhsa_exception_fp_denorm_src 0
		.amdhsa_exception_fp_ieee_div_zero 0
		.amdhsa_exception_fp_ieee_overflow 0
		.amdhsa_exception_fp_ieee_underflow 0
		.amdhsa_exception_fp_ieee_inexact 0
		.amdhsa_exception_int_div_zero 0
	.end_amdhsa_kernel
	.text
.Lfunc_end0:
	.size	fft_rtc_back_len400_factors_4_10_10_wgs_120_tpt_40_halfLds_dp_op_CI_CI_unitstride_sbrr_R2C_dirReg, .Lfunc_end0-fft_rtc_back_len400_factors_4_10_10_wgs_120_tpt_40_halfLds_dp_op_CI_CI_unitstride_sbrr_R2C_dirReg
                                        ; -- End function
	.section	.AMDGPU.csdata,"",@progbits
; Kernel info:
; codeLenInByte = 7704
; NumSgprs: 32
; NumVgprs: 83
; ScratchSize: 0
; MemoryBound: 0
; FloatMode: 240
; IeeeMode: 1
; LDSByteSize: 0 bytes/workgroup (compile time only)
; SGPRBlocks: 3
; VGPRBlocks: 20
; NumSGPRsForWavesPerEU: 32
; NumVGPRsForWavesPerEU: 83
; Occupancy: 3
; WaveLimiterHint : 1
; COMPUTE_PGM_RSRC2:SCRATCH_EN: 0
; COMPUTE_PGM_RSRC2:USER_SGPR: 6
; COMPUTE_PGM_RSRC2:TRAP_HANDLER: 0
; COMPUTE_PGM_RSRC2:TGID_X_EN: 1
; COMPUTE_PGM_RSRC2:TGID_Y_EN: 0
; COMPUTE_PGM_RSRC2:TGID_Z_EN: 0
; COMPUTE_PGM_RSRC2:TIDIG_COMP_CNT: 0
	.type	__hip_cuid_d032cf08901f2149,@object ; @__hip_cuid_d032cf08901f2149
	.section	.bss,"aw",@nobits
	.globl	__hip_cuid_d032cf08901f2149
__hip_cuid_d032cf08901f2149:
	.byte	0                               ; 0x0
	.size	__hip_cuid_d032cf08901f2149, 1

	.ident	"AMD clang version 19.0.0git (https://github.com/RadeonOpenCompute/llvm-project roc-6.4.0 25133 c7fe45cf4b819c5991fe208aaa96edf142730f1d)"
	.section	".note.GNU-stack","",@progbits
	.addrsig
	.addrsig_sym __hip_cuid_d032cf08901f2149
	.amdgpu_metadata
---
amdhsa.kernels:
  - .args:
      - .actual_access:  read_only
        .address_space:  global
        .offset:         0
        .size:           8
        .value_kind:     global_buffer
      - .offset:         8
        .size:           8
        .value_kind:     by_value
      - .actual_access:  read_only
        .address_space:  global
        .offset:         16
        .size:           8
        .value_kind:     global_buffer
      - .actual_access:  read_only
        .address_space:  global
        .offset:         24
        .size:           8
        .value_kind:     global_buffer
      - .actual_access:  read_only
        .address_space:  global
        .offset:         32
        .size:           8
        .value_kind:     global_buffer
      - .offset:         40
        .size:           8
        .value_kind:     by_value
      - .actual_access:  read_only
        .address_space:  global
        .offset:         48
        .size:           8
        .value_kind:     global_buffer
      - .actual_access:  read_only
        .address_space:  global
        .offset:         56
        .size:           8
        .value_kind:     global_buffer
      - .offset:         64
        .size:           4
        .value_kind:     by_value
      - .actual_access:  read_only
        .address_space:  global
        .offset:         72
        .size:           8
        .value_kind:     global_buffer
      - .actual_access:  read_only
        .address_space:  global
        .offset:         80
        .size:           8
        .value_kind:     global_buffer
      - .actual_access:  read_only
        .address_space:  global
        .offset:         88
        .size:           8
        .value_kind:     global_buffer
      - .actual_access:  write_only
        .address_space:  global
        .offset:         96
        .size:           8
        .value_kind:     global_buffer
    .group_segment_fixed_size: 0
    .kernarg_segment_align: 8
    .kernarg_segment_size: 104
    .language:       OpenCL C
    .language_version:
      - 2
      - 0
    .max_flat_workgroup_size: 120
    .name:           fft_rtc_back_len400_factors_4_10_10_wgs_120_tpt_40_halfLds_dp_op_CI_CI_unitstride_sbrr_R2C_dirReg
    .private_segment_fixed_size: 0
    .sgpr_count:     32
    .sgpr_spill_count: 0
    .symbol:         fft_rtc_back_len400_factors_4_10_10_wgs_120_tpt_40_halfLds_dp_op_CI_CI_unitstride_sbrr_R2C_dirReg.kd
    .uniform_work_group_size: 1
    .uses_dynamic_stack: false
    .vgpr_count:     83
    .vgpr_spill_count: 0
    .wavefront_size: 64
amdhsa.target:   amdgcn-amd-amdhsa--gfx906
amdhsa.version:
  - 1
  - 2
...

	.end_amdgpu_metadata
